;; amdgpu-corpus repo=ROCm/rocFFT kind=compiled arch=gfx1201 opt=O3
	.text
	.amdgcn_target "amdgcn-amd-amdhsa--gfx1201"
	.amdhsa_code_object_version 6
	.protected	bluestein_single_fwd_len63_dim1_sp_op_CI_CI ; -- Begin function bluestein_single_fwd_len63_dim1_sp_op_CI_CI
	.globl	bluestein_single_fwd_len63_dim1_sp_op_CI_CI
	.p2align	8
	.type	bluestein_single_fwd_len63_dim1_sp_op_CI_CI,@function
bluestein_single_fwd_len63_dim1_sp_op_CI_CI: ; @bluestein_single_fwd_len63_dim1_sp_op_CI_CI
; %bb.0:
	s_load_b128 s[8:11], s[0:1], 0x28
	v_mul_u32_u24_e32 v1, 0xc31, v0
	s_mov_b32 s2, exec_lo
	s_delay_alu instid0(VALU_DEP_1) | instskip(NEXT) | instid1(VALU_DEP_1)
	v_lshrrev_b32_e32 v1, 16, v1
	v_mad_co_u64_u32 v[28:29], null, ttmp9, 12, v[1:2]
	v_mov_b32_e32 v29, 0
	s_wait_kmcnt 0x0
	s_delay_alu instid0(VALU_DEP_1)
	v_cmpx_gt_u64_e64 s[8:9], v[28:29]
	s_cbranch_execz .LBB0_10
; %bb.1:
	s_load_b128 s[4:7], s[0:1], 0x18
	v_mul_lo_u16 v1, v1, 21
                                        ; implicit-def: $vgpr26
                                        ; implicit-def: $vgpr37
	s_delay_alu instid0(VALU_DEP_1) | instskip(NEXT) | instid1(VALU_DEP_1)
	v_sub_nc_u16 v10, v0, v1
	v_and_b32_e32 v39, 0xffff, v10
	s_delay_alu instid0(VALU_DEP_1)
	v_lshlrev_b32_e32 v42, 3, v39
	s_wait_kmcnt 0x0
	s_load_b128 s[12:15], s[4:5], 0x0
	s_wait_kmcnt 0x0
	v_mad_co_u64_u32 v[0:1], null, s14, v28, 0
	v_mad_co_u64_u32 v[2:3], null, s12, v39, 0
	s_mul_i32 s2, s13, 0xa8
	s_delay_alu instid0(VALU_DEP_1) | instskip(NEXT) | instid1(VALU_DEP_1)
	v_mad_co_u64_u32 v[4:5], null, s15, v28, v[1:2]
	v_mad_co_u64_u32 v[5:6], null, s13, v39, v[3:4]
	v_mul_hi_u32 v6, 0xaaaaaaab, v28
	v_mov_b32_e32 v1, v4
	s_delay_alu instid0(VALU_DEP_1) | instskip(NEXT) | instid1(VALU_DEP_3)
	v_lshlrev_b64_e32 v[0:1], 3, v[0:1]
	v_lshrrev_b32_e32 v6, 3, v6
	s_delay_alu instid0(VALU_DEP_2) | instskip(NEXT) | instid1(VALU_DEP_2)
	v_add_co_u32 v0, vcc_lo, s10, v0
	v_mul_lo_u32 v6, v6, 12
	s_delay_alu instid0(VALU_DEP_4) | instskip(SKIP_3) | instid1(VALU_DEP_2)
	v_add_co_ci_u32_e32 v1, vcc_lo, s11, v1, vcc_lo
	s_clause 0x1
	s_load_b128 s[8:11], s[0:1], 0x0
	s_load_b64 s[0:1], s[0:1], 0x38
	v_sub_nc_u32_e32 v6, v28, v6
	s_delay_alu instid0(VALU_DEP_1) | instskip(NEXT) | instid1(VALU_DEP_1)
	v_mul_u32_u24_e32 v6, 63, v6
	v_lshlrev_b32_e32 v41, 3, v6
	s_delay_alu instid0(VALU_DEP_1) | instskip(NEXT) | instid1(VALU_DEP_1)
	v_dual_mov_b32 v3, v5 :: v_dual_add_nc_u32 v40, v42, v41
	v_lshlrev_b64_e32 v[2:3], 3, v[2:3]
	s_delay_alu instid0(VALU_DEP_1) | instskip(SKIP_1) | instid1(VALU_DEP_2)
	v_add_co_u32 v0, vcc_lo, v0, v2
	s_wait_alu 0xfffd
	v_add_co_ci_u32_e32 v1, vcc_lo, v1, v3, vcc_lo
	v_cmp_gt_u16_e32 vcc_lo, 9, v10
	s_delay_alu instid0(VALU_DEP_2)
	v_mad_co_u64_u32 v[2:3], null, 0xa8, s12, v[0:1]
	global_load_b64 v[0:1], v[0:1], off
	s_wait_kmcnt 0x0
	global_load_b64 v[29:30], v42, s[8:9]
	s_wait_loadcnt 0x0
	v_dual_mul_f32 v6, v1, v30 :: v_dual_add_nc_u32 v3, s2, v3
	s_delay_alu instid0(VALU_DEP_1) | instskip(NEXT) | instid1(VALU_DEP_2)
	v_mad_co_u64_u32 v[4:5], null, 0xa8, s12, v[2:3]
	v_fmac_f32_e32 v6, v0, v29
	s_delay_alu instid0(VALU_DEP_2)
	v_add_nc_u32_e32 v5, s2, v5
	global_load_b64 v[2:3], v[2:3], off
	s_clause 0x1
	global_load_b64 v[31:32], v42, s[8:9] offset:168
	global_load_b64 v[33:34], v42, s[8:9] offset:336
	global_load_b64 v[4:5], v[4:5], off
	v_and_b32_e32 v7, 0xff, v10
	s_load_b128 s[4:7], s[6:7], 0x0
	v_add_co_u32 v35, s2, s8, v42
	s_wait_alu 0xf1ff
	v_add_co_ci_u32_e64 v36, null, s9, 0, s2
	v_mul_lo_u16 v7, 0xab, v7
	s_delay_alu instid0(VALU_DEP_1) | instskip(SKIP_1) | instid1(VALU_DEP_1)
	v_lshrrev_b16 v11, 9, v7
	v_mul_f32_e32 v7, v0, v30
	v_fma_f32 v7, v1, v29, -v7
	s_wait_loadcnt 0x2
	v_mul_f32_e32 v0, v3, v32
	s_wait_loadcnt 0x0
	v_dual_mul_f32 v9, v2, v32 :: v_dual_mul_f32 v8, v5, v34
	v_mul_f32_e32 v12, v4, v34
	s_delay_alu instid0(VALU_DEP_3) | instskip(NEXT) | instid1(VALU_DEP_3)
	v_fmac_f32_e32 v0, v2, v31
	v_fma_f32 v1, v3, v31, -v9
	s_delay_alu instid0(VALU_DEP_4) | instskip(NEXT) | instid1(VALU_DEP_4)
	v_fmac_f32_e32 v8, v4, v33
	v_fma_f32 v9, v5, v33, -v12
	v_mul_lo_u16 v12, v11, 3
	ds_store_2addr_b64 v40, v[6:7], v[0:1] offset1:21
	ds_store_b64 v40, v[8:9] offset:336
	global_wb scope:SCOPE_SE
	s_wait_dscnt 0x0
	s_wait_kmcnt 0x0
	s_barrier_signal -1
	s_barrier_wait -1
	global_inv scope:SCOPE_SE
	ds_load_2addr_b64 v[0:3], v40 offset1:21
	ds_load_b64 v[4:5], v40 offset:336
	v_sub_nc_u16 v6, v10, v12
	v_mul_lo_u16 v7, v10, 3
	global_wb scope:SCOPE_SE
	s_wait_dscnt 0x0
	s_barrier_signal -1
	s_barrier_wait -1
	v_lshlrev_b16 v8, 1, v6
	v_and_b32_e32 v7, 0xffff, v7
	global_inv scope:SCOPE_SE
	v_mad_u16 v6, v11, 9, v6
	v_and_b32_e32 v8, 0xfe, v8
	v_lshl_add_u32 v43, v7, 3, v41
	s_delay_alu instid0(VALU_DEP_2) | instskip(SKIP_2) | instid1(VALU_DEP_1)
	v_lshlrev_b32_e32 v7, 3, v8
	v_dual_add_f32 v9, v0, v2 :: v_dual_add_f32 v12, v3, v5
	v_dual_add_f32 v8, v2, v4 :: v_dual_sub_f32 v13, v3, v5
	v_fma_f32 v0, -0.5, v8, v0
	v_dual_sub_f32 v8, v2, v4 :: v_dual_add_f32 v3, v1, v3
	s_delay_alu instid0(VALU_DEP_4) | instskip(SKIP_1) | instid1(VALU_DEP_4)
	v_fma_f32 v1, -0.5, v12, v1
	v_add_f32_e32 v2, v9, v4
	v_fmamk_f32 v4, v13, 0x3f5db3d7, v0
	v_fmac_f32_e32 v0, 0xbf5db3d7, v13
	v_add_f32_e32 v3, v3, v5
	v_fmamk_f32 v5, v8, 0xbf5db3d7, v1
	v_fmac_f32_e32 v1, 0x3f5db3d7, v8
	ds_store_2addr_b64 v43, v[2:3], v[4:5] offset1:1
	ds_store_b64 v43, v[0:1] offset:16
	global_wb scope:SCOPE_SE
	s_wait_dscnt 0x0
	s_barrier_signal -1
	s_barrier_wait -1
	global_inv scope:SCOPE_SE
	global_load_b128 v[12:15], v7, s[10:11]
	ds_load_2addr_b64 v[0:3], v40 offset1:21
	ds_load_b64 v[4:5], v40 offset:336
	global_wb scope:SCOPE_SE
	s_wait_loadcnt_dscnt 0x0
	s_barrier_signal -1
	s_barrier_wait -1
	global_inv scope:SCOPE_SE
	v_dual_mul_f32 v7, v3, v13 :: v_dual_mul_f32 v8, v5, v15
	v_dual_mul_f32 v9, v2, v13 :: v_dual_mul_f32 v10, v4, v15
	v_and_b32_e32 v6, 0xff, v6
	s_delay_alu instid0(VALU_DEP_3) | instskip(NEXT) | instid1(VALU_DEP_4)
	v_fma_f32 v2, v2, v12, -v7
	v_fma_f32 v4, v4, v14, -v8
	s_delay_alu instid0(VALU_DEP_4) | instskip(NEXT) | instid1(VALU_DEP_4)
	v_dual_fmac_f32 v9, v3, v12 :: v_dual_fmac_f32 v10, v5, v14
	v_lshl_add_u32 v44, v6, 3, v41
	s_delay_alu instid0(VALU_DEP_4) | instskip(NEXT) | instid1(VALU_DEP_3)
	v_add_f32_e32 v5, v0, v2
	v_dual_add_f32 v3, v2, v4 :: v_dual_add_f32 v8, v1, v9
	s_delay_alu instid0(VALU_DEP_4) | instskip(SKIP_1) | instid1(VALU_DEP_4)
	v_add_f32_e32 v6, v9, v10
	v_sub_f32_e32 v7, v9, v10
	v_add_f32_e32 v16, v5, v4
	s_delay_alu instid0(VALU_DEP_4) | instskip(SKIP_2) | instid1(VALU_DEP_3)
	v_fma_f32 v20, -0.5, v3, v0
	v_dual_add_f32 v17, v8, v10 :: v_dual_sub_f32 v0, v2, v4
	v_fma_f32 v21, -0.5, v6, v1
	v_fmamk_f32 v18, v7, 0x3f5db3d7, v20
	s_delay_alu instid0(VALU_DEP_2)
	v_dual_fmac_f32 v20, 0xbf5db3d7, v7 :: v_dual_fmamk_f32 v19, v0, 0xbf5db3d7, v21
	v_fmac_f32_e32 v21, 0x3f5db3d7, v0
	ds_store_2addr_b64 v44, v[16:17], v[18:19] offset1:3
	ds_store_b64 v44, v[20:21] offset:48
	global_wb scope:SCOPE_SE
	s_wait_dscnt 0x0
	s_barrier_signal -1
	s_barrier_wait -1
	global_inv scope:SCOPE_SE
	s_and_saveexec_b32 s2, vcc_lo
	s_cbranch_execz .LBB0_3
; %bb.2:
	ds_load_2addr_b64 v[16:19], v40 offset1:9
	ds_load_2addr_b64 v[20:23], v40 offset0:18 offset1:27
	ds_load_2addr_b64 v[24:27], v40 offset0:36 offset1:45
	ds_load_b64 v[37:38], v40 offset:432
.LBB0_3:
	s_wait_alu 0xfffe
	s_or_b32 exec_lo, exec_lo, s2
	v_and_b32_e32 v0, 0xff, v39
	s_delay_alu instid0(VALU_DEP_1) | instskip(NEXT) | instid1(VALU_DEP_1)
	v_mul_lo_u16 v0, v0, 57
	v_lshrrev_b16 v0, 9, v0
	s_delay_alu instid0(VALU_DEP_1) | instskip(NEXT) | instid1(VALU_DEP_1)
	v_mul_lo_u16 v0, v0, 9
	v_sub_nc_u16 v0, v39, v0
	s_delay_alu instid0(VALU_DEP_1) | instskip(NEXT) | instid1(VALU_DEP_1)
	v_mul_lo_u16 v0, v0, 6
	v_and_b32_e32 v0, 0xfe, v0
	s_delay_alu instid0(VALU_DEP_1)
	v_lshlrev_b32_e32 v8, 3, v0
	s_clause 0x2
	global_load_b128 v[4:7], v8, s[10:11] offset:48
	global_load_b128 v[0:3], v8, s[10:11] offset:64
	;; [unrolled: 1-line block ×3, first 2 shown]
	s_wait_loadcnt_dscnt 0x101
	v_dual_mul_f32 v46, v18, v5 :: v_dual_mul_f32 v51, v25, v3
	v_mul_f32_e32 v47, v21, v7
	v_dual_mul_f32 v45, v19, v5 :: v_dual_mul_f32 v48, v20, v7
	s_wait_loadcnt 0x0
	v_mul_f32_e32 v53, v27, v9
	v_mul_f32_e32 v49, v23, v1
	s_wait_dscnt 0x0
	v_dual_mul_f32 v55, v38, v11 :: v_dual_fmac_f32 v46, v19, v4
	v_fma_f32 v19, v20, v6, -v47
	v_mul_f32_e32 v54, v26, v9
	v_fma_f32 v20, v22, v0, -v49
	v_fmac_f32_e32 v48, v21, v6
	v_fma_f32 v21, v24, v2, -v51
	v_fma_f32 v18, v18, v4, -v45
	v_fmac_f32_e32 v54, v27, v8
	v_mul_f32_e32 v50, v22, v1
	v_mul_f32_e32 v56, v37, v11
	v_fma_f32 v22, v37, v10, -v55
	v_add_f32_e32 v37, v20, v21
	s_delay_alu instid0(VALU_DEP_4) | instskip(SKIP_2) | instid1(VALU_DEP_2)
	v_dual_add_f32 v27, v48, v54 :: v_dual_fmac_f32 v50, v23, v0
	v_fma_f32 v23, v26, v8, -v53
	v_sub_f32_e32 v20, v21, v20
	v_add_f32_e32 v26, v19, v23
	v_sub_f32_e32 v19, v19, v23
	v_sub_f32_e32 v23, v48, v54
	s_delay_alu instid0(VALU_DEP_2) | instskip(SKIP_2) | instid1(VALU_DEP_1)
	v_dual_fmac_f32 v56, v38, v10 :: v_dual_add_f32 v49, v20, v19
	v_mul_f32_e32 v52, v24, v3
	v_dual_add_f32 v24, v18, v22 :: v_dual_sub_f32 v51, v20, v19
	v_dual_fmac_f32 v52, v25, v2 :: v_dual_add_f32 v45, v26, v24
	v_sub_f32_e32 v18, v18, v22
	v_add_f32_e32 v25, v46, v56
	s_delay_alu instid0(VALU_DEP_3) | instskip(NEXT) | instid1(VALU_DEP_3)
	v_dual_add_f32 v45, v37, v45 :: v_dual_sub_f32 v22, v46, v56
	v_dual_sub_f32 v19, v19, v18 :: v_dual_add_f32 v38, v50, v52
	s_delay_alu instid0(VALU_DEP_3) | instskip(SKIP_1) | instid1(VALU_DEP_4)
	v_add_f32_e32 v46, v27, v25
	v_sub_f32_e32 v48, v27, v25
	v_sub_f32_e32 v53, v23, v22
	s_delay_alu instid0(VALU_DEP_4) | instskip(SKIP_1) | instid1(VALU_DEP_3)
	v_sub_f32_e32 v25, v25, v38
	v_sub_f32_e32 v21, v52, v50
	v_dual_sub_f32 v27, v38, v27 :: v_dual_mul_f32 v54, 0x3f5ff5aa, v53
	s_delay_alu instid0(VALU_DEP_2)
	v_dual_mul_f32 v25, 0x3f4a47b2, v25 :: v_dual_sub_f32 v52, v21, v23
	v_dual_add_f32 v50, v21, v23 :: v_dual_sub_f32 v21, v22, v21
	v_dual_sub_f32 v47, v26, v24 :: v_dual_sub_f32 v26, v37, v26
	v_add_f32_e32 v46, v38, v46
	v_sub_f32_e32 v20, v18, v20
	v_mul_f32_e32 v38, 0x3d64c772, v27
	s_delay_alu instid0(VALU_DEP_4) | instskip(NEXT) | instid1(VALU_DEP_4)
	v_dual_sub_f32 v24, v24, v37 :: v_dual_mul_f32 v37, 0x3d64c772, v26
	v_add_f32_e32 v23, v17, v46
	v_add_f32_e32 v18, v49, v18
	v_dual_add_f32 v49, v50, v22 :: v_dual_mul_f32 v50, 0xbf08b237, v51
	v_fmamk_f32 v17, v27, 0x3d64c772, v25
	v_mul_f32_e32 v51, 0xbf08b237, v52
	v_fma_f32 v27, 0x3f3bfb3b, v48, -v38
	v_fma_f32 v48, 0xbf3bfb3b, v48, -v25
	;; [unrolled: 1-line block ×3, first 2 shown]
	s_delay_alu instid0(VALU_DEP_4) | instskip(SKIP_1) | instid1(VALU_DEP_3)
	v_fmamk_f32 v25, v21, 0x3eae86e6, v51
	v_fmamk_f32 v21, v46, 0xbf955555, v23
	v_fmac_f32_e32 v38, 0x3ee1c552, v49
	s_delay_alu instid0(VALU_DEP_3) | instskip(NEXT) | instid1(VALU_DEP_3)
	v_fmac_f32_e32 v25, 0x3ee1c552, v49
	v_add_f32_e32 v48, v48, v21
	v_mul_f32_e32 v52, 0x3f5ff5aa, v19
	v_fma_f32 v19, 0x3f5ff5aa, v19, -v50
	v_add_f32_e32 v22, v16, v45
	s_delay_alu instid0(VALU_DEP_2) | instskip(SKIP_1) | instid1(VALU_DEP_1)
	v_dual_add_f32 v46, v17, v21 :: v_dual_fmac_f32 v19, 0x3ee1c552, v18
	v_mul_f32_e32 v24, 0x3f4a47b2, v24
	v_fmamk_f32 v16, v26, 0x3d64c772, v24
	v_fma_f32 v26, 0x3f3bfb3b, v47, -v37
	v_fma_f32 v47, 0xbf3bfb3b, v47, -v24
	v_fmamk_f32 v24, v20, 0x3eae86e6, v50
	v_fma_f32 v50, 0x3f5ff5aa, v53, -v51
	v_fma_f32 v37, 0xbeae86e6, v20, -v52
	v_fmamk_f32 v20, v45, 0xbf955555, v22
	s_delay_alu instid0(VALU_DEP_4) | instskip(NEXT) | instid1(VALU_DEP_3)
	v_fmac_f32_e32 v24, 0x3ee1c552, v18
	v_dual_fmac_f32 v50, 0x3ee1c552, v49 :: v_dual_fmac_f32 v37, 0x3ee1c552, v18
	s_delay_alu instid0(VALU_DEP_3) | instskip(SKIP_3) | instid1(VALU_DEP_4)
	v_add_f32_e32 v18, v26, v20
	v_add_f32_e32 v26, v27, v21
	;; [unrolled: 1-line block ×4, first 2 shown]
	v_dual_add_f32 v45, v16, v20 :: v_dual_sub_f32 v16, v18, v50
	s_delay_alu instid0(VALU_DEP_4)
	v_add_f32_e32 v17, v19, v26
	v_add_f32_e32 v18, v50, v18
	v_dual_sub_f32 v19, v26, v19 :: v_dual_sub_f32 v20, v47, v38
	v_add_f32_e32 v21, v37, v48
	v_sub_f32_e32 v26, v45, v25
	s_and_saveexec_b32 s2, vcc_lo
	s_cbranch_execz .LBB0_5
; %bb.4:
	v_dual_sub_f32 v48, v48, v37 :: v_dual_add_f32 v47, v38, v47
	v_dual_sub_f32 v38, v46, v24 :: v_dual_add_f32 v37, v25, v45
	v_lshl_add_u32 v24, v39, 3, v41
	ds_store_b64 v40, v[22:23]
	ds_store_2addr_b64 v24, v[37:38], v[47:48] offset0:9 offset1:18
	ds_store_2addr_b64 v24, v[16:17], v[18:19] offset0:27 offset1:36
	;; [unrolled: 1-line block ×3, first 2 shown]
.LBB0_5:
	s_wait_alu 0xfffe
	s_or_b32 exec_lo, exec_lo, s2
	s_add_nc_u64 s[2:3], s[8:9], 0x1f8
	global_wb scope:SCOPE_SE
	s_wait_dscnt 0x0
	s_barrier_signal -1
	s_barrier_wait -1
	global_inv scope:SCOPE_SE
	s_clause 0x2
	global_load_b64 v[35:36], v[35:36], off offset:504
	global_load_b64 v[37:38], v42, s[2:3] offset:168
	global_load_b64 v[45:46], v42, s[2:3] offset:336
	ds_load_2addr_b64 v[22:25], v40 offset1:21
	ds_load_b64 v[47:48], v40 offset:336
	s_wait_loadcnt_dscnt 0x101
	v_dual_mul_f32 v42, v23, v36 :: v_dual_mul_f32 v51, v25, v38
	v_mul_f32_e32 v50, v22, v36
	v_mul_f32_e32 v36, v24, v38
	s_wait_loadcnt_dscnt 0x0
	v_mul_f32_e32 v52, v48, v46
	v_mul_f32_e32 v38, v47, v46
	v_fma_f32 v49, v22, v35, -v42
	v_fmac_f32_e32 v50, v23, v35
	v_fma_f32 v35, v24, v37, -v51
	v_fmac_f32_e32 v36, v25, v37
	;; [unrolled: 2-line block ×3, first 2 shown]
	ds_store_2addr_b64 v40, v[49:50], v[35:36] offset1:21
	ds_store_b64 v40, v[37:38] offset:336
	global_wb scope:SCOPE_SE
	s_wait_dscnt 0x0
	s_barrier_signal -1
	s_barrier_wait -1
	global_inv scope:SCOPE_SE
	ds_load_2addr_b64 v[22:25], v40 offset1:21
	ds_load_b64 v[35:36], v40 offset:336
	global_wb scope:SCOPE_SE
	s_wait_dscnt 0x0
	s_barrier_signal -1
	s_barrier_wait -1
	global_inv scope:SCOPE_SE
	v_add_f32_e32 v37, v24, v35
	v_sub_f32_e32 v45, v25, v36
	v_add_f32_e32 v38, v22, v24
	s_delay_alu instid0(VALU_DEP_3) | instskip(SKIP_1) | instid1(VALU_DEP_3)
	v_fma_f32 v22, -0.5, v37, v22
	v_dual_sub_f32 v37, v24, v35 :: v_dual_add_f32 v42, v25, v36
	v_dual_add_f32 v25, v23, v25 :: v_dual_add_f32 v24, v38, v35
	s_delay_alu instid0(VALU_DEP_3) | instskip(SKIP_1) | instid1(VALU_DEP_4)
	v_fmamk_f32 v35, v45, 0xbf5db3d7, v22
	v_fmac_f32_e32 v22, 0x3f5db3d7, v45
	v_fma_f32 v23, -0.5, v42, v23
	s_delay_alu instid0(VALU_DEP_4) | instskip(NEXT) | instid1(VALU_DEP_2)
	v_add_f32_e32 v25, v25, v36
	v_fmamk_f32 v36, v37, 0x3f5db3d7, v23
	v_fmac_f32_e32 v23, 0xbf5db3d7, v37
	ds_store_2addr_b64 v43, v[24:25], v[35:36] offset1:1
	ds_store_b64 v43, v[22:23] offset:16
	global_wb scope:SCOPE_SE
	s_wait_dscnt 0x0
	s_barrier_signal -1
	s_barrier_wait -1
	global_inv scope:SCOPE_SE
	ds_load_2addr_b64 v[22:25], v40 offset1:21
	ds_load_b64 v[35:36], v40 offset:336
	global_wb scope:SCOPE_SE
	s_wait_dscnt 0x0
	s_barrier_signal -1
	s_barrier_wait -1
	global_inv scope:SCOPE_SE
	v_mul_f32_e32 v37, v13, v25
	v_mul_f32_e32 v13, v13, v24
	s_delay_alu instid0(VALU_DEP_2) | instskip(NEXT) | instid1(VALU_DEP_2)
	v_fmac_f32_e32 v37, v12, v24
	v_fma_f32 v12, v12, v25, -v13
	v_mul_f32_e32 v38, v15, v36
	v_mul_f32_e32 v15, v15, v35
	s_delay_alu instid0(VALU_DEP_1) | instskip(NEXT) | instid1(VALU_DEP_1)
	v_fma_f32 v13, v14, v36, -v15
	v_sub_f32_e32 v25, v12, v13
	v_add_f32_e32 v15, v12, v13
	s_delay_alu instid0(VALU_DEP_1) | instskip(SKIP_1) | instid1(VALU_DEP_1)
	v_fma_f32 v15, -0.5, v15, v23
	v_add_f32_e32 v12, v23, v12
	v_dual_fmac_f32 v38, v14, v35 :: v_dual_add_f32 v23, v12, v13
	s_delay_alu instid0(VALU_DEP_1) | instskip(SKIP_1) | instid1(VALU_DEP_1)
	v_dual_add_f32 v24, v22, v37 :: v_dual_sub_f32 v35, v37, v38
	v_add_f32_e32 v14, v37, v38
	v_fma_f32 v14, -0.5, v14, v22
	s_delay_alu instid0(VALU_DEP_3) | instskip(NEXT) | instid1(VALU_DEP_2)
	v_add_f32_e32 v22, v24, v38
	v_fmamk_f32 v24, v25, 0xbf5db3d7, v14
	v_dual_fmac_f32 v14, 0x3f5db3d7, v25 :: v_dual_fmamk_f32 v25, v35, 0x3f5db3d7, v15
	v_fmac_f32_e32 v15, 0xbf5db3d7, v35
	ds_store_2addr_b64 v44, v[22:23], v[24:25] offset1:3
	ds_store_b64 v44, v[14:15] offset:48
	global_wb scope:SCOPE_SE
	s_wait_dscnt 0x0
	s_barrier_signal -1
	s_barrier_wait -1
	global_inv scope:SCOPE_SE
	s_and_saveexec_b32 s2, vcc_lo
	s_cbranch_execz .LBB0_7
; %bb.6:
	ds_load_2addr_b64 v[22:25], v40 offset1:9
	ds_load_2addr_b64 v[14:17], v40 offset0:18 offset1:27
	ds_load_2addr_b64 v[18:21], v40 offset0:36 offset1:45
	ds_load_b64 v[26:27], v40 offset:432
.LBB0_7:
	s_wait_alu 0xfffe
	s_or_b32 exec_lo, exec_lo, s2
	s_and_saveexec_b32 s2, vcc_lo
	s_cbranch_execz .LBB0_9
; %bb.8:
	s_wait_dscnt 0x1
	v_dual_mul_f32 v12, v3, v19 :: v_dual_mul_f32 v13, v1, v17
	s_wait_dscnt 0x0
	v_dual_mul_f32 v35, v5, v25 :: v_dual_mul_f32 v36, v11, v27
	v_mul_f32_e32 v1, v1, v16
	v_mul_f32_e32 v3, v3, v18
	v_dual_fmac_f32 v12, v2, v18 :: v_dual_fmac_f32 v13, v0, v16
	s_delay_alu instid0(VALU_DEP_4)
	v_dual_mul_f32 v37, v7, v15 :: v_dual_fmac_f32 v36, v10, v26
	v_mul_f32_e32 v11, v11, v26
	v_fmac_f32_e32 v35, v4, v24
	v_fma_f32 v0, v0, v17, -v1
	v_fma_f32 v2, v2, v19, -v3
	v_dual_sub_f32 v26, v12, v13 :: v_dual_mul_f32 v5, v5, v24
	v_mul_f32_e32 v24, v9, v21
	v_fma_f32 v10, v10, v27, -v11
	s_delay_alu instid0(VALU_DEP_4)
	v_dual_add_f32 v1, v0, v2 :: v_dual_add_f32 v12, v13, v12
	v_mul_f32_e32 v7, v7, v14
	v_sub_f32_e32 v11, v35, v36
	v_mul_f32_e32 v9, v9, v20
	v_dual_fmac_f32 v37, v6, v14 :: v_dual_fmac_f32 v24, v8, v20
	v_fma_f32 v4, v4, v25, -v5
	v_fma_f32 v6, v6, v15, -v7
	v_sub_f32_e32 v16, v11, v26
	v_fma_f32 v5, v8, v21, -v9
	v_dual_sub_f32 v9, v37, v24 :: v_dual_add_f32 v24, v24, v37
	v_add_f32_e32 v7, v10, v4
	v_sub_f32_e32 v2, v2, v0
	s_delay_alu instid0(VALU_DEP_4) | instskip(NEXT) | instid1(VALU_DEP_3)
	v_dual_add_f32 v8, v5, v6 :: v_dual_sub_f32 v5, v6, v5
	v_dual_sub_f32 v4, v4, v10 :: v_dual_sub_f32 v15, v7, v1
	s_delay_alu instid0(VALU_DEP_2) | instskip(SKIP_1) | instid1(VALU_DEP_3)
	v_dual_sub_f32 v14, v26, v9 :: v_dual_add_f32 v3, v8, v7
	v_sub_f32_e32 v18, v1, v8
	v_dual_sub_f32 v10, v2, v5 :: v_dual_mul_f32 v15, 0x3f4a47b2, v15
	s_delay_alu instid0(VALU_DEP_3) | instskip(NEXT) | instid1(VALU_DEP_2)
	v_dual_mul_f32 v14, 0x3f08b237, v14 :: v_dual_add_f32 v3, v1, v3
	v_dual_sub_f32 v7, v8, v7 :: v_dual_mul_f32 v10, 0x3f08b237, v10
	s_delay_alu instid0(VALU_DEP_3) | instskip(NEXT) | instid1(VALU_DEP_3)
	v_fmamk_f32 v20, v18, 0x3d64c772, v15
	v_dual_mul_f32 v18, 0x3d64c772, v18 :: v_dual_add_f32 v1, v23, v3
	v_add_f32_e32 v23, v36, v35
	s_delay_alu instid0(VALU_DEP_1) | instskip(NEXT) | instid1(VALU_DEP_3)
	v_sub_f32_e32 v0, v23, v12
	v_fmamk_f32 v21, v3, 0xbf955555, v1
	s_delay_alu instid0(VALU_DEP_1) | instskip(SKIP_1) | instid1(VALU_DEP_1)
	v_add_f32_e32 v13, v20, v21
	v_dual_add_f32 v20, v24, v23 :: v_dual_add_f32 v17, v26, v9
	v_dual_sub_f32 v9, v9, v11 :: v_dual_add_f32 v6, v12, v20
	v_fmamk_f32 v19, v16, 0xbeae86e6, v14
	s_delay_alu instid0(VALU_DEP_3) | instskip(SKIP_1) | instid1(VALU_DEP_4)
	v_dual_add_f32 v17, v17, v11 :: v_dual_mul_f32 v20, 0x3f4a47b2, v0
	v_sub_f32_e32 v12, v12, v24
	v_add_f32_e32 v0, v22, v6
	s_delay_alu instid0(VALU_DEP_3) | instskip(NEXT) | instid1(VALU_DEP_3)
	v_dual_sub_f32 v22, v4, v2 :: v_dual_fmac_f32 v19, 0xbee1c552, v17
	v_mul_f32_e32 v8, 0x3d64c772, v12
	v_dual_add_f32 v2, v2, v5 :: v_dual_fmamk_f32 v11, v12, 0x3d64c772, v20
	s_delay_alu instid0(VALU_DEP_3) | instskip(NEXT) | instid1(VALU_DEP_2)
	v_dual_fmamk_f32 v6, v6, 0xbf955555, v0 :: v_dual_add_f32 v3, v19, v13
	v_dual_sub_f32 v13, v13, v19 :: v_dual_add_f32 v26, v2, v4
	v_dual_sub_f32 v4, v5, v4 :: v_dual_fmamk_f32 v25, v22, 0xbeae86e6, v10
	s_delay_alu instid0(VALU_DEP_3) | instskip(SKIP_2) | instid1(VALU_DEP_4)
	v_add_f32_e32 v12, v11, v6
	v_mul_f32_e32 v2, 0xbf5ff5aa, v9
	v_fma_f32 v9, 0xbf5ff5aa, v9, -v14
	v_mul_f32_e32 v5, 0xbf5ff5aa, v4
	v_fmac_f32_e32 v25, 0xbee1c552, v26
	v_fma_f32 v4, 0xbf5ff5aa, v4, -v10
	v_fma_f32 v11, 0x3eae86e6, v16, -v2
	v_sub_f32_e32 v16, v24, v23
	v_fma_f32 v14, 0x3eae86e6, v22, -v5
	s_delay_alu instid0(VALU_DEP_4) | instskip(SKIP_1) | instid1(VALU_DEP_4)
	v_dual_fmac_f32 v9, 0xbee1c552, v17 :: v_dual_fmac_f32 v4, 0xbee1c552, v26
	v_fma_f32 v15, 0xbf3bfb3b, v7, -v15
	v_fma_f32 v20, 0xbf3bfb3b, v16, -v20
	s_delay_alu instid0(VALU_DEP_4) | instskip(SKIP_4) | instid1(VALU_DEP_4)
	v_fmac_f32_e32 v14, 0xbee1c552, v26
	v_fma_f32 v7, 0x3f3bfb3b, v7, -v18
	v_fma_f32 v8, 0x3f3bfb3b, v16, -v8
	v_fmac_f32_e32 v11, 0xbee1c552, v17
	v_dual_add_f32 v15, v15, v21 :: v_dual_add_f32 v16, v20, v6
	v_add_f32_e32 v10, v7, v21
	s_delay_alu instid0(VALU_DEP_4) | instskip(NEXT) | instid1(VALU_DEP_3)
	v_add_f32_e32 v8, v8, v6
	v_dual_sub_f32 v2, v12, v25 :: v_dual_add_f32 v5, v11, v15
	v_dual_sub_f32 v11, v15, v11 :: v_dual_add_f32 v12, v25, v12
	s_delay_alu instid0(VALU_DEP_3)
	v_dual_sub_f32 v7, v10, v9 :: v_dual_add_f32 v6, v4, v8
	v_dual_add_f32 v9, v9, v10 :: v_dual_add_f32 v10, v14, v16
	v_lshl_add_u32 v15, v39, 3, v41
	v_sub_f32_e32 v8, v8, v4
	v_sub_f32_e32 v4, v16, v14
	ds_store_b64 v40, v[0:1]
	ds_store_2addr_b64 v15, v[12:13], v[10:11] offset0:9 offset1:18
	ds_store_2addr_b64 v15, v[8:9], v[6:7] offset0:27 offset1:36
	;; [unrolled: 1-line block ×3, first 2 shown]
.LBB0_9:
	s_wait_alu 0xfffe
	s_or_b32 exec_lo, exec_lo, s2
	global_wb scope:SCOPE_SE
	s_wait_dscnt 0x0
	s_barrier_signal -1
	s_barrier_wait -1
	global_inv scope:SCOPE_SE
	ds_load_2addr_b64 v[0:3], v40 offset1:21
	ds_load_b64 v[4:5], v40 offset:336
	s_mov_b32 s2, 0x10410410
	s_mov_b32 s3, 0x3f904104
	v_mad_co_u64_u32 v[12:13], null, s6, v28, 0
	v_mad_co_u64_u32 v[14:15], null, s4, v39, 0
	s_delay_alu instid0(VALU_DEP_1)
	v_mad_co_u64_u32 v[16:17], null, s7, v28, v[13:14]
	s_wait_dscnt 0x1
	v_dual_mul_f32 v6, v30, v1 :: v_dual_mul_f32 v9, v32, v2
	v_dual_mul_f32 v7, v30, v0 :: v_dual_mul_f32 v8, v32, v3
	s_wait_dscnt 0x0
	v_mul_f32_e32 v11, v34, v4
	s_delay_alu instid0(VALU_DEP_3)
	v_fmac_f32_e32 v6, v29, v0
	v_fma_f32 v9, v31, v3, -v9
	v_fma_f32 v7, v29, v1, -v7
	v_fmac_f32_e32 v8, v31, v2
	v_dual_mul_f32 v10, v34, v5 :: v_dual_mov_b32 v13, v16
	v_cvt_f64_f32_e32 v[0:1], v6
	s_delay_alu instid0(VALU_DEP_4) | instskip(SKIP_4) | instid1(VALU_DEP_1)
	v_cvt_f64_f32_e32 v[2:3], v7
	v_cvt_f64_f32_e32 v[6:7], v9
	v_fma_f32 v11, v33, v5, -v11
	v_lshlrev_b64_e32 v[12:13], 3, v[12:13]
	v_mad_co_u64_u32 v[17:18], null, s5, v39, v[15:16]
	v_mov_b32_e32 v15, v17
	s_delay_alu instid0(VALU_DEP_1) | instskip(SKIP_4) | instid1(VALU_DEP_3)
	v_lshlrev_b64_e32 v[14:15], 3, v[14:15]
	s_wait_alu 0xfffe
	v_mul_f64_e32 v[0:1], s[2:3], v[0:1]
	v_mul_f64_e32 v[2:3], s[2:3], v[2:3]
	;; [unrolled: 1-line block ×3, first 2 shown]
	v_cvt_f32_f64_e32 v0, v[0:1]
	s_delay_alu instid0(VALU_DEP_3) | instskip(NEXT) | instid1(VALU_DEP_3)
	v_cvt_f32_f64_e32 v1, v[2:3]
	v_cvt_f32_f64_e32 v3, v[6:7]
	v_add_co_u32 v6, vcc_lo, s0, v12
	s_mul_i32 s0, s5, 0xa8
	v_fmac_f32_e32 v10, v33, v4
	v_cvt_f64_f32_e32 v[4:5], v8
	s_wait_alu 0xfffd
	v_add_co_ci_u32_e32 v7, vcc_lo, s1, v13, vcc_lo
	v_add_co_u32 v6, vcc_lo, v6, v14
	v_cvt_f64_f32_e32 v[8:9], v10
	v_cvt_f64_f32_e32 v[10:11], v11
	s_wait_alu 0xfffd
	v_add_co_ci_u32_e32 v7, vcc_lo, v7, v15, vcc_lo
	v_mul_f64_e32 v[4:5], s[2:3], v[4:5]
	s_delay_alu instid0(VALU_DEP_4) | instskip(NEXT) | instid1(VALU_DEP_4)
	v_mul_f64_e32 v[8:9], s[2:3], v[8:9]
	v_mul_f64_e32 v[10:11], s[2:3], v[10:11]
	s_delay_alu instid0(VALU_DEP_3) | instskip(NEXT) | instid1(VALU_DEP_3)
	v_cvt_f32_f64_e32 v2, v[4:5]
	v_cvt_f32_f64_e32 v4, v[8:9]
	s_delay_alu instid0(VALU_DEP_3) | instskip(SKIP_2) | instid1(VALU_DEP_1)
	v_cvt_f32_f64_e32 v5, v[10:11]
	v_mad_co_u64_u32 v[8:9], null, 0xa8, s4, v[6:7]
	s_wait_alu 0xfffe
	v_add_nc_u32_e32 v9, s0, v9
	s_delay_alu instid0(VALU_DEP_1) | instskip(NEXT) | instid1(VALU_DEP_1)
	v_mad_co_u64_u32 v[10:11], null, 0xa8, s4, v[8:9]
	v_add_nc_u32_e32 v11, s0, v11
	s_clause 0x2
	global_store_b64 v[6:7], v[0:1], off
	global_store_b64 v[8:9], v[2:3], off
	;; [unrolled: 1-line block ×3, first 2 shown]
.LBB0_10:
	s_nop 0
	s_sendmsg sendmsg(MSG_DEALLOC_VGPRS)
	s_endpgm
	.section	.rodata,"a",@progbits
	.p2align	6, 0x0
	.amdhsa_kernel bluestein_single_fwd_len63_dim1_sp_op_CI_CI
		.amdhsa_group_segment_fixed_size 6048
		.amdhsa_private_segment_fixed_size 0
		.amdhsa_kernarg_size 104
		.amdhsa_user_sgpr_count 2
		.amdhsa_user_sgpr_dispatch_ptr 0
		.amdhsa_user_sgpr_queue_ptr 0
		.amdhsa_user_sgpr_kernarg_segment_ptr 1
		.amdhsa_user_sgpr_dispatch_id 0
		.amdhsa_user_sgpr_private_segment_size 0
		.amdhsa_wavefront_size32 1
		.amdhsa_uses_dynamic_stack 0
		.amdhsa_enable_private_segment 0
		.amdhsa_system_sgpr_workgroup_id_x 1
		.amdhsa_system_sgpr_workgroup_id_y 0
		.amdhsa_system_sgpr_workgroup_id_z 0
		.amdhsa_system_sgpr_workgroup_info 0
		.amdhsa_system_vgpr_workitem_id 0
		.amdhsa_next_free_vgpr 57
		.amdhsa_next_free_sgpr 16
		.amdhsa_reserve_vcc 1
		.amdhsa_float_round_mode_32 0
		.amdhsa_float_round_mode_16_64 0
		.amdhsa_float_denorm_mode_32 3
		.amdhsa_float_denorm_mode_16_64 3
		.amdhsa_fp16_overflow 0
		.amdhsa_workgroup_processor_mode 1
		.amdhsa_memory_ordered 1
		.amdhsa_forward_progress 0
		.amdhsa_round_robin_scheduling 0
		.amdhsa_exception_fp_ieee_invalid_op 0
		.amdhsa_exception_fp_denorm_src 0
		.amdhsa_exception_fp_ieee_div_zero 0
		.amdhsa_exception_fp_ieee_overflow 0
		.amdhsa_exception_fp_ieee_underflow 0
		.amdhsa_exception_fp_ieee_inexact 0
		.amdhsa_exception_int_div_zero 0
	.end_amdhsa_kernel
	.text
.Lfunc_end0:
	.size	bluestein_single_fwd_len63_dim1_sp_op_CI_CI, .Lfunc_end0-bluestein_single_fwd_len63_dim1_sp_op_CI_CI
                                        ; -- End function
	.section	.AMDGPU.csdata,"",@progbits
; Kernel info:
; codeLenInByte = 3848
; NumSgprs: 18
; NumVgprs: 57
; ScratchSize: 0
; MemoryBound: 0
; FloatMode: 240
; IeeeMode: 1
; LDSByteSize: 6048 bytes/workgroup (compile time only)
; SGPRBlocks: 2
; VGPRBlocks: 7
; NumSGPRsForWavesPerEU: 18
; NumVGPRsForWavesPerEU: 57
; Occupancy: 16
; WaveLimiterHint : 1
; COMPUTE_PGM_RSRC2:SCRATCH_EN: 0
; COMPUTE_PGM_RSRC2:USER_SGPR: 2
; COMPUTE_PGM_RSRC2:TRAP_HANDLER: 0
; COMPUTE_PGM_RSRC2:TGID_X_EN: 1
; COMPUTE_PGM_RSRC2:TGID_Y_EN: 0
; COMPUTE_PGM_RSRC2:TGID_Z_EN: 0
; COMPUTE_PGM_RSRC2:TIDIG_COMP_CNT: 0
	.text
	.p2alignl 7, 3214868480
	.fill 96, 4, 3214868480
	.type	__hip_cuid_10b7e6152b107593,@object ; @__hip_cuid_10b7e6152b107593
	.section	.bss,"aw",@nobits
	.globl	__hip_cuid_10b7e6152b107593
__hip_cuid_10b7e6152b107593:
	.byte	0                               ; 0x0
	.size	__hip_cuid_10b7e6152b107593, 1

	.ident	"AMD clang version 19.0.0git (https://github.com/RadeonOpenCompute/llvm-project roc-6.4.0 25133 c7fe45cf4b819c5991fe208aaa96edf142730f1d)"
	.section	".note.GNU-stack","",@progbits
	.addrsig
	.addrsig_sym __hip_cuid_10b7e6152b107593
	.amdgpu_metadata
---
amdhsa.kernels:
  - .args:
      - .actual_access:  read_only
        .address_space:  global
        .offset:         0
        .size:           8
        .value_kind:     global_buffer
      - .actual_access:  read_only
        .address_space:  global
        .offset:         8
        .size:           8
        .value_kind:     global_buffer
      - .actual_access:  read_only
        .address_space:  global
        .offset:         16
        .size:           8
        .value_kind:     global_buffer
      - .actual_access:  read_only
        .address_space:  global
        .offset:         24
        .size:           8
        .value_kind:     global_buffer
      - .actual_access:  read_only
        .address_space:  global
        .offset:         32
        .size:           8
        .value_kind:     global_buffer
      - .offset:         40
        .size:           8
        .value_kind:     by_value
      - .address_space:  global
        .offset:         48
        .size:           8
        .value_kind:     global_buffer
      - .address_space:  global
        .offset:         56
        .size:           8
        .value_kind:     global_buffer
      - .address_space:  global
        .offset:         64
        .size:           8
        .value_kind:     global_buffer
      - .address_space:  global
        .offset:         72
        .size:           8
        .value_kind:     global_buffer
      - .offset:         80
        .size:           4
        .value_kind:     by_value
      - .address_space:  global
        .offset:         88
        .size:           8
        .value_kind:     global_buffer
      - .address_space:  global
        .offset:         96
        .size:           8
        .value_kind:     global_buffer
    .group_segment_fixed_size: 6048
    .kernarg_segment_align: 8
    .kernarg_segment_size: 104
    .language:       OpenCL C
    .language_version:
      - 2
      - 0
    .max_flat_workgroup_size: 252
    .name:           bluestein_single_fwd_len63_dim1_sp_op_CI_CI
    .private_segment_fixed_size: 0
    .sgpr_count:     18
    .sgpr_spill_count: 0
    .symbol:         bluestein_single_fwd_len63_dim1_sp_op_CI_CI.kd
    .uniform_work_group_size: 1
    .uses_dynamic_stack: false
    .vgpr_count:     57
    .vgpr_spill_count: 0
    .wavefront_size: 32
    .workgroup_processor_mode: 1
amdhsa.target:   amdgcn-amd-amdhsa--gfx1201
amdhsa.version:
  - 1
  - 2
...

	.end_amdgpu_metadata
